;; amdgpu-corpus repo=ROCm/rocFFT kind=compiled arch=gfx1030 opt=O3
	.text
	.amdgcn_target "amdgcn-amd-amdhsa--gfx1030"
	.amdhsa_code_object_version 6
	.protected	fft_rtc_fwd_len1820_factors_10_13_7_2_wgs_182_tpt_182_halfLds_half_op_CI_CI_unitstride_sbrr_dirReg ; -- Begin function fft_rtc_fwd_len1820_factors_10_13_7_2_wgs_182_tpt_182_halfLds_half_op_CI_CI_unitstride_sbrr_dirReg
	.globl	fft_rtc_fwd_len1820_factors_10_13_7_2_wgs_182_tpt_182_halfLds_half_op_CI_CI_unitstride_sbrr_dirReg
	.p2align	8
	.type	fft_rtc_fwd_len1820_factors_10_13_7_2_wgs_182_tpt_182_halfLds_half_op_CI_CI_unitstride_sbrr_dirReg,@function
fft_rtc_fwd_len1820_factors_10_13_7_2_wgs_182_tpt_182_halfLds_half_op_CI_CI_unitstride_sbrr_dirReg: ; @fft_rtc_fwd_len1820_factors_10_13_7_2_wgs_182_tpt_182_halfLds_half_op_CI_CI_unitstride_sbrr_dirReg
; %bb.0:
	s_clause 0x2
	s_load_dwordx4 s[12:15], s[4:5], 0x0
	s_load_dwordx4 s[8:11], s[4:5], 0x58
	;; [unrolled: 1-line block ×3, first 2 shown]
	v_mul_u32_u24_e32 v1, 0x169, v0
	v_mov_b32_e32 v3, 0
	v_mov_b32_e32 v7, 0
	;; [unrolled: 1-line block ×3, first 2 shown]
	v_add_nc_u32_sdwa v9, s6, v1 dst_sel:DWORD dst_unused:UNUSED_PAD src0_sel:DWORD src1_sel:WORD_1
	v_mov_b32_e32 v10, v3
	s_waitcnt lgkmcnt(0)
	v_cmp_lt_u64_e64 s0, s[14:15], 2
	s_and_b32 vcc_lo, exec_lo, s0
	s_cbranch_vccnz .LBB0_8
; %bb.1:
	s_load_dwordx2 s[0:1], s[4:5], 0x10
	v_mov_b32_e32 v7, 0
	v_mov_b32_e32 v8, 0
	s_add_u32 s2, s18, 8
	s_addc_u32 s3, s19, 0
	v_mov_b32_e32 v1, v7
	s_add_u32 s6, s16, 8
	v_mov_b32_e32 v2, v8
	s_addc_u32 s7, s17, 0
	s_mov_b64 s[22:23], 1
	s_waitcnt lgkmcnt(0)
	s_add_u32 s20, s0, 8
	s_addc_u32 s21, s1, 0
.LBB0_2:                                ; =>This Inner Loop Header: Depth=1
	s_load_dwordx2 s[24:25], s[20:21], 0x0
                                        ; implicit-def: $vgpr5_vgpr6
	s_mov_b32 s0, exec_lo
	s_waitcnt lgkmcnt(0)
	v_or_b32_e32 v4, s25, v10
	v_cmpx_ne_u64_e32 0, v[3:4]
	s_xor_b32 s1, exec_lo, s0
	s_cbranch_execz .LBB0_4
; %bb.3:                                ;   in Loop: Header=BB0_2 Depth=1
	v_cvt_f32_u32_e32 v4, s24
	v_cvt_f32_u32_e32 v5, s25
	s_sub_u32 s0, 0, s24
	s_subb_u32 s26, 0, s25
	v_fmac_f32_e32 v4, 0x4f800000, v5
	v_rcp_f32_e32 v4, v4
	v_mul_f32_e32 v4, 0x5f7ffffc, v4
	v_mul_f32_e32 v5, 0x2f800000, v4
	v_trunc_f32_e32 v5, v5
	v_fmac_f32_e32 v4, 0xcf800000, v5
	v_cvt_u32_f32_e32 v5, v5
	v_cvt_u32_f32_e32 v4, v4
	v_mul_lo_u32 v6, s0, v5
	v_mul_hi_u32 v11, s0, v4
	v_mul_lo_u32 v12, s26, v4
	v_add_nc_u32_e32 v6, v11, v6
	v_mul_lo_u32 v11, s0, v4
	v_add_nc_u32_e32 v6, v6, v12
	v_mul_hi_u32 v12, v4, v11
	v_mul_lo_u32 v13, v4, v6
	v_mul_hi_u32 v14, v4, v6
	v_mul_hi_u32 v15, v5, v11
	v_mul_lo_u32 v11, v5, v11
	v_mul_hi_u32 v16, v5, v6
	v_mul_lo_u32 v6, v5, v6
	v_add_co_u32 v12, vcc_lo, v12, v13
	v_add_co_ci_u32_e32 v13, vcc_lo, 0, v14, vcc_lo
	v_add_co_u32 v11, vcc_lo, v12, v11
	v_add_co_ci_u32_e32 v11, vcc_lo, v13, v15, vcc_lo
	v_add_co_ci_u32_e32 v12, vcc_lo, 0, v16, vcc_lo
	v_add_co_u32 v6, vcc_lo, v11, v6
	v_add_co_ci_u32_e32 v11, vcc_lo, 0, v12, vcc_lo
	v_add_co_u32 v4, vcc_lo, v4, v6
	v_add_co_ci_u32_e32 v5, vcc_lo, v5, v11, vcc_lo
	v_mul_hi_u32 v6, s0, v4
	v_mul_lo_u32 v12, s26, v4
	v_mul_lo_u32 v11, s0, v5
	v_add_nc_u32_e32 v6, v6, v11
	v_mul_lo_u32 v11, s0, v4
	v_add_nc_u32_e32 v6, v6, v12
	v_mul_hi_u32 v12, v4, v11
	v_mul_lo_u32 v13, v4, v6
	v_mul_hi_u32 v14, v4, v6
	v_mul_hi_u32 v15, v5, v11
	v_mul_lo_u32 v11, v5, v11
	v_mul_hi_u32 v16, v5, v6
	v_mul_lo_u32 v6, v5, v6
	v_add_co_u32 v12, vcc_lo, v12, v13
	v_add_co_ci_u32_e32 v13, vcc_lo, 0, v14, vcc_lo
	v_add_co_u32 v11, vcc_lo, v12, v11
	v_add_co_ci_u32_e32 v11, vcc_lo, v13, v15, vcc_lo
	v_add_co_ci_u32_e32 v12, vcc_lo, 0, v16, vcc_lo
	v_add_co_u32 v6, vcc_lo, v11, v6
	v_add_co_ci_u32_e32 v11, vcc_lo, 0, v12, vcc_lo
	v_add_co_u32 v6, vcc_lo, v4, v6
	v_add_co_ci_u32_e32 v13, vcc_lo, v5, v11, vcc_lo
	v_mul_hi_u32 v15, v9, v6
	v_mad_u64_u32 v[11:12], null, v10, v6, 0
	v_mad_u64_u32 v[4:5], null, v9, v13, 0
	;; [unrolled: 1-line block ×3, first 2 shown]
	v_add_co_u32 v4, vcc_lo, v15, v4
	v_add_co_ci_u32_e32 v5, vcc_lo, 0, v5, vcc_lo
	v_add_co_u32 v4, vcc_lo, v4, v11
	v_add_co_ci_u32_e32 v4, vcc_lo, v5, v12, vcc_lo
	v_add_co_ci_u32_e32 v5, vcc_lo, 0, v14, vcc_lo
	v_add_co_u32 v11, vcc_lo, v4, v13
	v_add_co_ci_u32_e32 v6, vcc_lo, 0, v5, vcc_lo
	v_mul_lo_u32 v12, s25, v11
	v_mad_u64_u32 v[4:5], null, s24, v11, 0
	v_mul_lo_u32 v13, s24, v6
	v_sub_co_u32 v4, vcc_lo, v9, v4
	v_add3_u32 v5, v5, v13, v12
	v_sub_nc_u32_e32 v12, v10, v5
	v_subrev_co_ci_u32_e64 v12, s0, s25, v12, vcc_lo
	v_add_co_u32 v13, s0, v11, 2
	v_add_co_ci_u32_e64 v14, s0, 0, v6, s0
	v_sub_co_u32 v15, s0, v4, s24
	v_sub_co_ci_u32_e32 v5, vcc_lo, v10, v5, vcc_lo
	v_subrev_co_ci_u32_e64 v12, s0, 0, v12, s0
	v_cmp_le_u32_e32 vcc_lo, s24, v15
	v_cmp_eq_u32_e64 s0, s25, v5
	v_cndmask_b32_e64 v15, 0, -1, vcc_lo
	v_cmp_le_u32_e32 vcc_lo, s25, v12
	v_cndmask_b32_e64 v16, 0, -1, vcc_lo
	v_cmp_le_u32_e32 vcc_lo, s24, v4
	;; [unrolled: 2-line block ×3, first 2 shown]
	v_cndmask_b32_e64 v17, 0, -1, vcc_lo
	v_cmp_eq_u32_e32 vcc_lo, s25, v12
	v_cndmask_b32_e64 v4, v17, v4, s0
	v_cndmask_b32_e32 v12, v16, v15, vcc_lo
	v_add_co_u32 v15, vcc_lo, v11, 1
	v_add_co_ci_u32_e32 v16, vcc_lo, 0, v6, vcc_lo
	v_cmp_ne_u32_e32 vcc_lo, 0, v12
	v_cndmask_b32_e32 v5, v16, v14, vcc_lo
	v_cndmask_b32_e32 v12, v15, v13, vcc_lo
	v_cmp_ne_u32_e32 vcc_lo, 0, v4
	v_cndmask_b32_e32 v6, v6, v5, vcc_lo
	v_cndmask_b32_e32 v5, v11, v12, vcc_lo
.LBB0_4:                                ;   in Loop: Header=BB0_2 Depth=1
	s_andn2_saveexec_b32 s0, s1
	s_cbranch_execz .LBB0_6
; %bb.5:                                ;   in Loop: Header=BB0_2 Depth=1
	v_cvt_f32_u32_e32 v4, s24
	s_sub_i32 s1, 0, s24
	v_rcp_iflag_f32_e32 v4, v4
	v_mul_f32_e32 v4, 0x4f7ffffe, v4
	v_cvt_u32_f32_e32 v4, v4
	v_mul_lo_u32 v5, s1, v4
	v_mul_hi_u32 v5, v4, v5
	v_add_nc_u32_e32 v4, v4, v5
	v_mul_hi_u32 v4, v9, v4
	v_mul_lo_u32 v5, v4, s24
	v_add_nc_u32_e32 v6, 1, v4
	v_sub_nc_u32_e32 v5, v9, v5
	v_subrev_nc_u32_e32 v11, s24, v5
	v_cmp_le_u32_e32 vcc_lo, s24, v5
	v_cndmask_b32_e32 v5, v5, v11, vcc_lo
	v_cndmask_b32_e32 v4, v4, v6, vcc_lo
	v_cmp_le_u32_e32 vcc_lo, s24, v5
	v_add_nc_u32_e32 v6, 1, v4
	v_cndmask_b32_e32 v5, v4, v6, vcc_lo
	v_mov_b32_e32 v6, v3
.LBB0_6:                                ;   in Loop: Header=BB0_2 Depth=1
	s_or_b32 exec_lo, exec_lo, s0
	v_mul_lo_u32 v4, v6, s24
	v_mul_lo_u32 v13, v5, s25
	s_load_dwordx2 s[0:1], s[6:7], 0x0
	v_mad_u64_u32 v[11:12], null, v5, s24, 0
	s_load_dwordx2 s[24:25], s[2:3], 0x0
	s_add_u32 s22, s22, 1
	s_addc_u32 s23, s23, 0
	s_add_u32 s2, s2, 8
	s_addc_u32 s3, s3, 0
	s_add_u32 s6, s6, 8
	v_add3_u32 v4, v12, v13, v4
	v_sub_co_u32 v9, vcc_lo, v9, v11
	s_addc_u32 s7, s7, 0
	s_add_u32 s20, s20, 8
	v_sub_co_ci_u32_e32 v4, vcc_lo, v10, v4, vcc_lo
	s_addc_u32 s21, s21, 0
	s_waitcnt lgkmcnt(0)
	v_mul_lo_u32 v10, s0, v4
	v_mul_lo_u32 v11, s1, v9
	v_mad_u64_u32 v[7:8], null, s0, v9, v[7:8]
	v_mul_lo_u32 v4, s24, v4
	v_mul_lo_u32 v12, s25, v9
	v_mad_u64_u32 v[1:2], null, s24, v9, v[1:2]
	v_cmp_ge_u64_e64 s0, s[22:23], s[14:15]
	v_add3_u32 v8, v11, v8, v10
	v_add3_u32 v2, v12, v2, v4
	s_and_b32 vcc_lo, exec_lo, s0
	s_cbranch_vccnz .LBB0_9
; %bb.7:                                ;   in Loop: Header=BB0_2 Depth=1
	v_mov_b32_e32 v10, v6
	v_mov_b32_e32 v9, v5
	s_branch .LBB0_2
.LBB0_8:
	v_mov_b32_e32 v1, v7
	v_mov_b32_e32 v5, v9
	;; [unrolled: 1-line block ×4, first 2 shown]
.LBB0_9:
	s_load_dwordx2 s[0:1], s[4:5], 0x28
	v_mul_hi_u32 v12, 0x1681682, v0
	s_lshl_b64 s[4:5], s[14:15], 3
                                        ; implicit-def: $vgpr3
	s_add_u32 s2, s18, s4
	s_addc_u32 s3, s19, s5
	s_waitcnt lgkmcnt(0)
	v_cmp_gt_u64_e32 vcc_lo, s[0:1], v[5:6]
	v_cmp_le_u64_e64 s0, s[0:1], v[5:6]
	s_and_saveexec_b32 s1, s0
	s_xor_b32 s0, exec_lo, s1
; %bb.10:
	v_mul_u32_u24_e32 v3, 0xb6, v12
                                        ; implicit-def: $vgpr12
                                        ; implicit-def: $vgpr7_vgpr8
	v_sub_nc_u32_e32 v3, v0, v3
                                        ; implicit-def: $vgpr0
; %bb.11:
	s_or_saveexec_b32 s1, s0
                                        ; implicit-def: $vgpr4
                                        ; implicit-def: $vgpr11
                                        ; implicit-def: $vgpr18
                                        ; implicit-def: $vgpr15
                                        ; implicit-def: $vgpr20
                                        ; implicit-def: $vgpr21
                                        ; implicit-def: $vgpr19
                                        ; implicit-def: $vgpr22
                                        ; implicit-def: $vgpr17
                                        ; implicit-def: $vgpr23
                                        ; implicit-def: $vgpr14
                                        ; implicit-def: $vgpr16
                                        ; implicit-def: $vgpr13
                                        ; implicit-def: $vgpr9
                                        ; implicit-def: $vgpr10
	s_xor_b32 exec_lo, exec_lo, s1
	s_cbranch_execz .LBB0_13
; %bb.12:
	s_add_u32 s4, s16, s4
	s_addc_u32 s5, s17, s5
	v_mul_u32_u24_e32 v11, 0xb6, v12
	s_load_dwordx2 s[4:5], s[4:5], 0x0
	v_lshlrev_b64 v[7:8], 2, v[7:8]
	s_waitcnt lgkmcnt(0)
	v_mul_lo_u32 v9, s5, v5
	v_mul_lo_u32 v10, s4, v6
	v_mad_u64_u32 v[3:4], null, s4, v5, 0
	v_add3_u32 v4, v4, v10, v9
	v_lshlrev_b64 v[9:10], 2, v[3:4]
	v_sub_nc_u32_e32 v3, v0, v11
	v_add_co_u32 v0, s0, s8, v9
	v_add_co_ci_u32_e64 v4, s0, s9, v10, s0
	v_lshlrev_b32_e32 v9, 2, v3
	v_add_co_u32 v0, s0, v0, v7
	v_add_co_ci_u32_e64 v4, s0, v4, v8, s0
	v_add_co_u32 v7, s0, v0, v9
	v_add_co_ci_u32_e64 v8, s0, 0, v4, s0
	s_clause 0x1
	global_load_dword v11, v[7:8], off
	global_load_dword v15, v[7:8], off offset:1456
	v_add_co_u32 v9, s0, 0x800, v7
	v_add_co_ci_u32_e64 v10, s0, 0, v8, s0
	v_add_co_u32 v12, s0, 0x1000, v7
	v_add_co_ci_u32_e64 v13, s0, 0, v8, s0
	;; [unrolled: 2-line block ×3, first 2 shown]
	s_clause 0x7
	global_load_dword v21, v[9:10], off offset:864
	global_load_dword v22, v[12:13], off offset:272
	;; [unrolled: 1-line block ×8, first 2 shown]
	s_waitcnt vmcnt(9)
	v_lshrrev_b32_e32 v4, 16, v11
	s_waitcnt vmcnt(8)
	v_lshrrev_b32_e32 v18, 16, v15
	;; [unrolled: 2-line block ×5, first 2 shown]
.LBB0_13:
	s_or_b32 exec_lo, exec_lo, s1
	v_add_f16_e32 v0, v21, v22
	v_sub_f16_e32 v7, v18, v17
	v_sub_f16_e32 v8, v20, v19
	v_add_f16_e32 v12, v15, v23
	v_sub_f16_e32 v24, v23, v22
	v_fma_f16 v29, -0.5, v0, v11
	v_sub_f16_e32 v0, v15, v21
	v_sub_f16_e32 v25, v21, v15
	v_fma_f16 v28, -0.5, v12, v11
	v_sub_f16_e32 v12, v22, v23
	v_fmamk_f16 v26, v7, 0x3b9c, v29
	v_fmac_f16_e32 v29, 0xbb9c, v7
	v_add_f16_e32 v0, v0, v24
	v_fmamk_f16 v27, v8, 0xbb9c, v28
	v_fmac_f16_e32 v28, 0x3b9c, v8
	v_fmac_f16_e32 v26, 0x38b4, v8
	;; [unrolled: 1-line block ×3, first 2 shown]
	s_waitcnt vmcnt(2)
	v_pk_add_f16 v8, v16, v14 neg_lo:[0,1] neg_hi:[0,1]
	v_add_f16_e32 v12, v25, v12
	v_perm_b32 v24, v16, v15, 0x5040100
	v_fmac_f16_e32 v26, 0x34f2, v0
	v_fmac_f16_e32 v29, 0x34f2, v0
	s_waitcnt vmcnt(1)
	v_perm_b32 v0, v10, v11, 0x5040100
	s_waitcnt vmcnt(0)
	v_pk_add_f16 v11, v9, v13 neg_lo:[0,1] neg_hi:[0,1]
	v_add_f16_e32 v25, v14, v13
	v_pk_add_f16 v30, v16, v9 neg_lo:[0,1] neg_hi:[0,1]
	v_pk_add_f16 v31, v14, v13 neg_lo:[0,1] neg_hi:[0,1]
	v_pk_add_f16 v0, v0, v24
	v_pk_add_f16 v8, v8, v11
	v_perm_b32 v11, v14, v21, 0x5040100
	v_fma_f16 v24, -0.5, v25, v10
	v_lshrrev_b32_e32 v25, 16, v30
	v_fmac_f16_e32 v27, 0x38b4, v7
	v_bfi_b32 v8, 0xffff, v8, v31
	v_fmac_f16_e32 v28, 0xb8b4, v7
	v_pk_add_f16 v0, v0, v11
	v_fmamk_f16 v7, v25, 0x3b9c, v24
	v_lshrrev_b32_e32 v34, 16, v10
	v_pk_mul_f16 v11, 0x38b434f2, v8
	v_perm_b32 v8, v13, v22, 0x5040100
	v_add_f16_sdwa v32, v14, v13 dst_sel:DWORD dst_unused:UNUSED_PAD src0_sel:WORD_1 src1_sel:WORD_1
	v_fmac_f16_e32 v24, 0xbb9c, v25
	v_pk_add_f16 v35, v13, v9 neg_lo:[0,1] neg_hi:[0,1]
	v_add_f16_sdwa v7, v11, v7 dst_sel:DWORD dst_unused:UNUSED_PAD src0_sel:WORD_1 src1_sel:DWORD
	v_pk_add_f16 v0, v0, v8
	v_fma_f16 v8, -0.5, v32, v34
	v_sub_f16_sdwa v25, v24, v11 dst_sel:DWORD dst_unused:UNUSED_PAD src0_sel:DWORD src1_sel:WORD_1
	v_pk_add_f16 v32, v14, v16 neg_lo:[0,1] neg_hi:[0,1]
	v_add_f16_e32 v33, v11, v7
	v_pk_add_f16 v7, v16, v9
	v_fmamk_f16 v24, v30, 0xbb9c, v8
	v_sub_f16_sdwa v36, v16, v14 dst_sel:DWORD dst_unused:UNUSED_PAD src0_sel:WORD_1 src1_sel:WORD_1
	v_sub_f16_sdwa v37, v9, v13 dst_sel:DWORD dst_unused:UNUSED_PAD src0_sel:WORD_1 src1_sel:WORD_1
	v_pk_mul_f16 v38, 0x38b4, v30 op_sel_hi:[0,1]
	v_pk_fma_f16 v7, v7, -0.5, v10 op_sel_hi:[1,0,1]
	v_pk_mul_f16 v10, 0x3b9c, v31 op_sel_hi:[0,1]
	v_fmac_f16_e32 v24, 0xb8b4, v31
	v_fmac_f16_e32 v8, 0x3b9c, v30
	v_pk_add_f16 v30, v32, v35
	v_fmac_f16_e32 v27, 0x34f2, v12
	v_pk_add_f16 v39, v7, v10 op_sel:[0,1] op_sel_hi:[1,0] neg_lo:[0,1] neg_hi:[0,1]
	v_pk_add_f16 v7, v10, v7 op_sel:[1,0] op_sel_hi:[0,1]
	v_add_f16_e32 v10, v36, v37
	v_fmac_f16_e32 v8, 0x38b4, v31
	v_add_f16_e32 v36, v11, v25
	v_pk_add_f16 v32, v38, v39 op_sel:[1,0] op_sel_hi:[0,1]
	v_pk_add_f16 v7, v7, v38 op_sel:[0,1] op_sel_hi:[1,0] neg_lo:[0,1] neg_hi:[0,1]
	v_fmac_f16_e32 v24, 0x34f2, v10
	v_fmac_f16_e32 v28, 0x34f2, v12
	v_perm_b32 v12, v9, v23, 0x5040100
	v_pk_fma_f16 v38, 0x34f2, v30, v32 op_sel_hi:[0,1,1]
	v_pk_fma_f16 v37, 0x34f2, v30, v7 op_sel_hi:[0,1,1]
	v_fmac_f16_e32 v8, 0x34f2, v10
	v_mul_f16_e32 v30, 0x38b4, v24
	v_mul_f16_e32 v7, 0x3a79, v36
	;; [unrolled: 1-line block ×3, first 2 shown]
	v_lshrrev_b32_e32 v10, 16, v37
	v_mul_f16_e32 v11, 0x34f2, v37
	v_lshrrev_b32_e32 v25, 16, v38
	s_load_dwordx2 s[2:3], s[2:3], 0x0
	v_pk_add_f16 v32, v0, v12
	v_fmac_f16_e32 v30, 0x3a79, v33
	v_fmac_f16_e32 v31, 0x3b9c, v10
	v_fma_f16 v39, v25, 0x3b9c, -v11
	v_fma_f16 v35, v8, 0x38b4, -v7
	v_add_f16_sdwa v0, v32, v32 dst_sel:DWORD dst_unused:UNUSED_PAD src0_sel:DWORD src1_sel:WORD_1
	v_add_f16_e32 v10, v26, v30
	v_add_f16_e32 v12, v27, v31
	;; [unrolled: 1-line block ×3, first 2 shown]
	v_sub_f16_sdwa v11, v32, v32 dst_sel:DWORD dst_unused:UNUSED_PAD src0_sel:DWORD src1_sel:WORD_1
	v_mul_u32_u24_e32 v32, 10, v3
	v_add_f16_e32 v7, v29, v35
	v_sub_f16_e32 v26, v26, v30
	v_sub_f16_e32 v27, v27, v31
	;; [unrolled: 1-line block ×4, first 2 shown]
	v_lshl_add_u32 v39, v32, 1, 0
	v_pack_b32_f16 v30, v12, v25
	v_pack_b32_f16 v31, v0, v10
	;; [unrolled: 1-line block ×5, first 2 shown]
	ds_write2_b32 v39, v31, v30 offset1:1
	ds_write2_b32 v39, v35, v32 offset0:2 offset1:3
	v_cmp_gt_u32_e64 s0, 0x8c, v3
	v_mad_i32_i24 v35, 0xffffffee, v3, v39
	ds_write_b32 v39, v40 offset:16
	s_waitcnt lgkmcnt(0)
	s_barrier
	buffer_gl0_inv
                                        ; implicit-def: $vgpr30
                                        ; implicit-def: $vgpr31
                                        ; implicit-def: $vgpr32
	s_and_saveexec_b32 s1, s0
	s_cbranch_execz .LBB0_15
; %bb.14:
	ds_read_u16 v0, v35
	ds_read_u16 v10, v35 offset:280
	ds_read_u16 v12, v35 offset:560
	;; [unrolled: 1-line block ×12, first 2 shown]
.LBB0_15:
	s_or_b32 exec_lo, exec_lo, s1
	v_add_f16_e32 v40, v20, v19
	v_add_f16_e32 v41, v4, v18
	;; [unrolled: 1-line block ×3, first 2 shown]
	v_sub_f16_e32 v15, v15, v23
	v_sub_f16_e32 v21, v21, v22
	;; [unrolled: 1-line block ×3, first 2 shown]
	v_fma_f16 v23, -0.5, v40, v4
	v_sub_f16_e32 v18, v20, v18
	v_add_f16_e32 v20, v41, v20
	v_fmac_f16_e32 v4, -0.5, v42
	v_sub_f16_e32 v40, v17, v19
	v_sub_f16_e32 v43, v19, v17
	v_add_f16_sdwa v16, v34, v16 dst_sel:DWORD dst_unused:UNUSED_PAD src0_sel:DWORD src1_sel:WORD_1
	v_add_f16_e32 v19, v20, v19
	v_fmamk_f16 v20, v21, 0x3b9c, v4
	v_fmac_f16_e32 v4, 0xbb9c, v21
	v_fmamk_f16 v41, v15, 0xbb9c, v23
	v_add_f16_sdwa v14, v16, v14 dst_sel:DWORD dst_unused:UNUSED_PAD src0_sel:DWORD src1_sel:WORD_1
	v_add_f16_e32 v16, v18, v43
	v_fmac_f16_e32 v20, 0xb8b4, v15
	v_fmac_f16_e32 v4, 0x38b4, v15
	v_add_f16_e32 v22, v22, v40
	v_fmac_f16_e32 v41, 0xb8b4, v21
	v_fmac_f16_e32 v23, 0x3b9c, v15
	v_add_f16_sdwa v13, v14, v13 dst_sel:DWORD dst_unused:UNUSED_PAD src0_sel:DWORD src1_sel:WORD_1
	v_mul_f16_e32 v14, 0xb8b4, v33
	v_mul_f16_e32 v15, 0x34f2, v16
	v_pack_b32_f16 v4, v4, v20
	v_pk_mul_f16 v16, 0x34f23b9c, v38
	v_fmac_f16_e32 v41, 0x34f2, v22
	v_fmac_f16_e32 v23, 0x38b4, v21
	v_add_f16_sdwa v9, v13, v9 dst_sel:DWORD dst_unused:UNUSED_PAD src0_sel:DWORD src1_sel:WORD_1
	v_fmac_f16_e32 v14, 0x3a79, v24
	v_mul_f16_e32 v8, 0x3a79, v8
	v_pk_add_f16 v13, v15, v4 op_sel_hi:[0,1]
	v_pk_fma_f16 v15, 0x34f2bb9c, v37, v16 op_sel:[0,0,1] op_sel_hi:[1,1,0] neg_lo:[0,0,1] neg_hi:[0,0,1]
	v_add_f16_e32 v17, v19, v17
	v_fmac_f16_e32 v23, 0x34f2, v22
	v_fma_f16 v8, v36, 0xb8b4, -v8
	v_bfi_b32 v16, 0xffff, v41, v13
	v_bfi_b32 v18, 0xffff, v14, v15
	v_add_f16_e32 v4, v17, v9
	v_add_f16_e32 v38, v41, v14
	v_pk_add_f16 v36, v13, v15
	v_add_f16_e32 v34, v23, v8
	v_sub_f16_e32 v37, v17, v9
	v_pk_add_f16 v33, v16, v18 neg_lo:[0,1] neg_hi:[0,1]
	v_sub_f16_e32 v40, v13, v15
	v_sub_f16_e32 v41, v23, v8
	v_alignbit_b32 v8, v36, v36, 16
	v_pack_b32_f16 v9, v4, v38
	v_pack_b32_f16 v13, v34, v37
	v_lshrrev_b32_e32 v42, 16, v33
	v_pack_b32_f16 v14, v40, v41
	v_lshrrev_b32_e32 v43, 16, v36
	s_waitcnt lgkmcnt(0)
	s_barrier
	buffer_gl0_inv
	ds_write2_b32 v39, v9, v8 offset1:1
	ds_write2_b32 v39, v13, v33 offset0:2 offset1:3
	ds_write_b32 v39, v14 offset:16
	s_waitcnt lgkmcnt(0)
	s_barrier
	buffer_gl0_inv
                                        ; implicit-def: $vgpr44
                                        ; implicit-def: $vgpr46
                                        ; implicit-def: $vgpr45
	s_and_saveexec_b32 s1, s0
	s_cbranch_execz .LBB0_17
; %bb.16:
	ds_read_u16 v4, v35
	ds_read_u16 v38, v35 offset:280
	ds_read_u16 v43, v35 offset:560
	;; [unrolled: 1-line block ×12, first 2 shown]
.LBB0_17:
	s_or_b32 exec_lo, exec_lo, s1
	v_and_b32_e32 v8, 0xff, v3
	v_mov_b32_e32 v13, 12
	v_mul_lo_u16 v8, 0xcd, v8
	v_lshrrev_b16 v8, 11, v8
	v_mul_lo_u16 v9, v8, 10
	v_sub_nc_u16 v9, v3, v9
	v_mul_u32_u24_sdwa v13, v9, v13 dst_sel:DWORD dst_unused:UNUSED_PAD src0_sel:BYTE_0 src1_sel:DWORD
	v_lshlrev_b32_e32 v13, 2, v13
	s_clause 0x2
	global_load_dwordx4 v[47:50], v13, s[12:13]
	global_load_dwordx4 v[51:54], v13, s[12:13] offset:16
	global_load_dwordx4 v[55:58], v13, s[12:13] offset:32
	s_waitcnt vmcnt(0) lgkmcnt(0)
	s_barrier
	buffer_gl0_inv
	v_mul_f16_sdwa v24, v10, v47 dst_sel:DWORD dst_unused:UNUSED_PAD src0_sel:DWORD src1_sel:WORD_1
	v_mul_f16_sdwa v35, v38, v47 dst_sel:DWORD dst_unused:UNUSED_PAD src0_sel:DWORD src1_sel:WORD_1
	;; [unrolled: 1-line block ×8, first 2 shown]
	v_fmac_f16_e32 v24, v38, v47
	v_fmac_f16_e32 v13, v46, v58
	v_mul_f16_sdwa v59, v43, v48 dst_sel:DWORD dst_unused:UNUSED_PAD src0_sel:DWORD src1_sel:WORD_1
	v_mul_f16_sdwa v60, v36, v49 dst_sel:DWORD dst_unused:UNUSED_PAD src0_sel:DWORD src1_sel:WORD_1
	;; [unrolled: 1-line block ×10, first 2 shown]
	v_fma_f16 v39, v10, v47, -v35
	v_fmac_f16_e32 v23, v43, v48
	v_fmac_f16_e32 v22, v36, v49
	v_fma_f16 v36, v7, v50, -v61
	v_fma_f16 v43, v31, v58, -v69
	v_fmac_f16_e32 v14, v44, v57
	v_sub_f16_e32 v7, v24, v13
	v_mul_f16_sdwa v62, v37, v51 dst_sel:DWORD dst_unused:UNUSED_PAD src0_sel:DWORD src1_sel:WORD_1
	v_mul_f16_sdwa v64, v42, v53 dst_sel:DWORD dst_unused:UNUSED_PAD src0_sel:DWORD src1_sel:WORD_1
	;; [unrolled: 1-line block ×6, first 2 shown]
	v_fma_f16 v38, v12, v48, -v59
	v_fma_f16 v35, v25, v49, -v60
	v_fmac_f16_e32 v20, v37, v51
	v_fma_f16 v12, v26, v52, -v63
	v_fmac_f16_e32 v16, v33, v52
	v_fmac_f16_e32 v17, v42, v53
	v_fma_f16 v37, v28, v54, -v65
	v_fma_f16 v42, v30, v57, -v68
	v_fmac_f16_e32 v15, v45, v56
	v_add_f16_e32 v28, v39, v43
	v_sub_f16_e32 v10, v23, v14
	v_pk_mul_f16 v49, 0xbbf1b770, v7 op_sel_hi:[1,0]
	v_pk_mul_f16 v52, 0xba95bb7b, v7 op_sel_hi:[1,0]
	;; [unrolled: 1-line block ×3, first 2 shown]
	v_fmac_f16_e32 v21, v34, v50
	v_fma_f16 v34, v11, v51, -v62
	v_fmac_f16_e32 v18, v40, v54
	v_fma_f16 v40, v29, v55, -v66
	v_fmac_f16_e32 v19, v41, v55
	v_fma_f16 v41, v32, v56, -v67
	v_add_f16_e32 v29, v38, v42
	v_sub_f16_e32 v11, v22, v15
	v_pk_mul_f16 v48, 0xb3a8ba95, v10 op_sel_hi:[1,0]
	v_pk_mul_f16 v51, 0xbb7b394e, v10 op_sel_hi:[1,0]
	;; [unrolled: 1-line block ×3, first 2 shown]
	v_pk_fma_f16 v7, 0x2fb73b15, v28, v49 op_sel_hi:[1,0,1]
	v_pk_fma_f16 v10, 0x388bb5ac, v28, v52 op_sel_hi:[1,0,1]
	;; [unrolled: 1-line block ×3, first 2 shown]
	v_add_f16_e32 v25, v35, v41
	v_sub_f16_e32 v30, v21, v19
	v_pk_mul_f16 v46, 0x3b7bbbf1, v11 op_sel_hi:[1,0]
	v_pk_mul_f16 v50, 0xb3a83770, v11 op_sel_hi:[1,0]
	;; [unrolled: 1-line block ×3, first 2 shown]
	v_pk_fma_f16 v11, 0xbbc4388b, v29, v48 op_sel_hi:[1,0,1]
	v_pk_fma_f16 v61, 0xb5acb9fd, v29, v51 op_sel_hi:[1,0,1]
	;; [unrolled: 1-line block ×3, first 2 shown]
	v_pk_add_f16 v7, v0, v7 op_sel_hi:[0,1]
	v_pk_add_f16 v10, v0, v10 op_sel_hi:[0,1]
	;; [unrolled: 1-line block ×3, first 2 shown]
	v_fma_f16 v33, v27, v53, -v64
	v_add_f16_e32 v26, v36, v40
	v_sub_f16_e32 v45, v20, v18
	v_pk_mul_f16 v31, 0x3770bb7b, v30 op_sel_hi:[1,0]
	v_pk_mul_f16 v47, 0x394ebbf1, v30 op_sel_hi:[1,0]
	;; [unrolled: 1-line block ×3, first 2 shown]
	v_pk_fma_f16 v63, 0xb5ac2fb7, v25, v46 op_sel_hi:[1,0,1]
	v_pk_fma_f16 v64, 0xbbc43b15, v25, v50 op_sel_hi:[1,0,1]
	;; [unrolled: 1-line block ×3, first 2 shown]
	v_pk_add_f16 v7, v11, v7
	v_pk_add_f16 v10, v61, v10
	;; [unrolled: 1-line block ×3, first 2 shown]
	v_add_f16_e32 v27, v34, v37
	v_sub_f16_e32 v59, v16, v17
	v_pk_mul_f16 v32, 0xba95b94e, v45 op_sel_hi:[1,0]
	v_pk_mul_f16 v44, 0x3bf133a8, v45 op_sel_hi:[1,0]
	v_pk_mul_f16 v56, 0x3770bb7b, v45 op_sel_hi:[1,0]
	v_pk_fma_f16 v66, 0x3b15b5ac, v26, v31 op_sel_hi:[1,0,1]
	v_pk_fma_f16 v67, 0xb9fd2fb7, v26, v47 op_sel_hi:[1,0,1]
	;; [unrolled: 1-line block ×3, first 2 shown]
	v_pk_add_f16 v7, v63, v7
	v_pk_add_f16 v10, v64, v10
	;; [unrolled: 1-line block ×3, first 2 shown]
	v_add_f16_e32 v53, v12, v33
	v_pk_mul_f16 v30, 0xb94eb3a8, v59 op_sel_hi:[1,0]
	v_pk_mul_f16 v45, 0x37703a95, v59 op_sel_hi:[1,0]
	;; [unrolled: 1-line block ×3, first 2 shown]
	v_pk_fma_f16 v60, 0x388bb9fd, v27, v32 op_sel_hi:[1,0,1]
	v_pk_fma_f16 v61, 0x2fb7bbc4, v27, v44 op_sel_hi:[1,0,1]
	v_pk_fma_f16 v62, 0x3b15b5ac, v27, v56 op_sel_hi:[1,0,1]
	v_pk_add_f16 v7, v66, v7
	v_pk_add_f16 v10, v67, v10
	v_pk_add_f16 v11, v68, v11
	v_pk_fma_f16 v63, 0xb9fdbbc4, v53, v30 op_sel_hi:[1,0,1]
	v_pk_fma_f16 v64, 0x3b15388b, v53, v45 op_sel_hi:[1,0,1]
	;; [unrolled: 1-line block ×3, first 2 shown]
	v_pk_add_f16 v7, v60, v7
	v_pk_add_f16 v60, v61, v10
	;; [unrolled: 1-line block ×6, first 2 shown]
	s_and_saveexec_b32 s1, s0
	s_cbranch_execz .LBB0_19
; %bb.18:
	v_add_f16_e32 v60, v0, v39
	v_pk_mul_f16 v61, 0x2fb73b15, v28 op_sel_hi:[1,0]
	v_pk_mul_f16 v67, 0x388bb5ac, v28 op_sel_hi:[1,0]
	v_pk_mul_f16 v28, 0xb9fdbbc4, v28 op_sel_hi:[1,0]
	v_pk_mul_f16 v62, 0xbbc4388b, v29 op_sel_hi:[1,0]
	v_add_f16_e32 v60, v60, v38
	v_pk_mul_f16 v63, 0xb5ac2fb7, v25 op_sel_hi:[1,0]
	v_pk_mul_f16 v64, 0x3b15b5ac, v26 op_sel_hi:[1,0]
	v_pk_mul_f16 v68, 0xb5acb9fd, v29 op_sel_hi:[1,0]
	v_pk_mul_f16 v69, 0xbbc43b15, v25 op_sel_hi:[1,0]
	;; [unrolled: 5-line block ×3, first 2 shown]
	v_add_f16_e32 v60, v60, v36
	v_pk_add_f16 v28, v28, v57 neg_lo:[0,1] neg_hi:[0,1]
	v_pk_add_f16 v29, v29, v58 neg_lo:[0,1] neg_hi:[0,1]
	;; [unrolled: 1-line block ×4, first 2 shown]
	v_add_f16_e32 v60, v60, v34
	v_add_f16_e32 v54, v0, v28
	v_add_f16_sdwa v28, v0, v28 dst_sel:DWORD dst_unused:UNUSED_PAD src0_sel:DWORD src1_sel:WORD_1
	v_pk_mul_f16 v65, 0x388bb9fd, v27 op_sel_hi:[1,0]
	v_pk_mul_f16 v71, 0x2fb7bbc4, v27 op_sel_hi:[1,0]
	v_add_f16_e32 v57, v60, v12
	v_add_f16_e32 v54, v29, v54
	v_pk_mul_f16 v27, 0x3b15b5ac, v27 op_sel_hi:[1,0]
	v_add_f16_sdwa v28, v29, v28 dst_sel:DWORD dst_unused:UNUSED_PAD src0_sel:WORD_1 src1_sel:DWORD
	v_pk_add_f16 v49, v61, v49 neg_lo:[0,1] neg_hi:[0,1]
	v_add_f16_e32 v55, v57, v33
	v_add_f16_e32 v29, v25, v54
	v_pk_add_f16 v27, v27, v56 neg_lo:[0,1] neg_hi:[0,1]
	v_add_f16_sdwa v25, v25, v28 dst_sel:DWORD dst_unused:UNUSED_PAD src0_sel:WORD_1 src1_sel:DWORD
	v_pk_add_f16 v52, v67, v52 neg_lo:[0,1] neg_hi:[0,1]
	v_add_f16_e32 v55, v55, v37
	v_add_f16_e32 v28, v26, v29
	v_pk_add_f16 v48, v62, v48 neg_lo:[0,1] neg_hi:[0,1]
	v_add_f16_sdwa v25, v26, v25 dst_sel:DWORD dst_unused:UNUSED_PAD src0_sel:WORD_1 src1_sel:DWORD
	v_pk_add_f16 v51, v68, v51 neg_lo:[0,1] neg_hi:[0,1]
	v_add_f16_e32 v54, v55, v40
	v_add_f16_e32 v26, v27, v28
	;; [unrolled: 1-line block ×3, first 2 shown]
	v_add_f16_sdwa v25, v27, v25 dst_sel:DWORD dst_unused:UNUSED_PAD src0_sel:WORD_1 src1_sel:DWORD
	v_pk_add_f16 v46, v63, v46 neg_lo:[0,1] neg_hi:[0,1]
	v_add_f16_e32 v29, v54, v41
	v_pk_add_f16 v50, v69, v50 neg_lo:[0,1] neg_hi:[0,1]
	v_add_f16_e32 v54, v51, v55
	v_pk_add_f16 v31, v64, v31 neg_lo:[0,1] neg_hi:[0,1]
	v_pk_mul_f16 v66, 0xb9fdbbc4, v53 op_sel_hi:[1,0]
	v_add_f16_e32 v28, v29, v42
	v_add_f16_sdwa v29, v0, v49 dst_sel:DWORD dst_unused:UNUSED_PAD src0_sel:DWORD src1_sel:WORD_1
	v_add_f16_e32 v54, v50, v54
	v_pk_add_f16 v32, v65, v32 neg_lo:[0,1] neg_hi:[0,1]
	v_pk_mul_f16 v72, 0x3b15388b, v53 op_sel_hi:[1,0]
	v_add_f16_e32 v27, v28, v43
	v_pk_add_f16 v28, v70, v47 neg_lo:[0,1] neg_hi:[0,1]
	v_add_f16_e32 v47, v0, v49
	v_add_f16_sdwa v0, v0, v52 dst_sel:DWORD dst_unused:UNUSED_PAD src0_sel:DWORD src1_sel:WORD_1
	v_add_f16_sdwa v29, v48, v29 dst_sel:DWORD dst_unused:UNUSED_PAD src0_sel:WORD_1 src1_sel:DWORD
	v_pk_add_f16 v44, v71, v44 neg_lo:[0,1] neg_hi:[0,1]
	v_add_f16_e32 v49, v28, v54
	v_add_f16_e32 v47, v48, v47
	v_add_f16_sdwa v0, v51, v0 dst_sel:DWORD dst_unused:UNUSED_PAD src0_sel:WORD_1 src1_sel:DWORD
	v_add_f16_sdwa v29, v46, v29 dst_sel:DWORD dst_unused:UNUSED_PAD src0_sel:WORD_1 src1_sel:DWORD
	v_mov_b32_e32 v48, 1
	v_pk_mul_f16 v53, 0xb5ac2fb7, v53 op_sel_hi:[1,0]
	v_add_f16_e32 v46, v46, v47
	v_add_f16_sdwa v0, v50, v0 dst_sel:DWORD dst_unused:UNUSED_PAD src0_sel:WORD_1 src1_sel:DWORD
	v_mov_b32_e32 v47, 0x104
	v_add_f16_sdwa v29, v31, v29 dst_sel:DWORD dst_unused:UNUSED_PAD src0_sel:WORD_1 src1_sel:DWORD
	v_pk_add_f16 v45, v72, v45 neg_lo:[0,1] neg_hi:[0,1]
	v_add_f16_e32 v31, v31, v46
	v_add_f16_sdwa v0, v28, v0 dst_sel:DWORD dst_unused:UNUSED_PAD src0_sel:WORD_1 src1_sel:DWORD
	v_pk_add_f16 v28, v66, v30 neg_lo:[0,1] neg_hi:[0,1]
	v_mul_u32_u24_sdwa v30, v8, v47 dst_sel:DWORD dst_unused:UNUSED_PAD src0_sel:WORD_0 src1_sel:DWORD
	v_lshlrev_b32_sdwa v46, v48, v9 dst_sel:DWORD dst_unused:UNUSED_PAD src0_sel:DWORD src1_sel:BYTE_0
	v_add_f16_e32 v31, v32, v31
	v_add_f16_sdwa v0, v44, v0 dst_sel:DWORD dst_unused:UNUSED_PAD src0_sel:WORD_1 src1_sel:DWORD
	v_add_f16_sdwa v29, v32, v29 dst_sel:DWORD dst_unused:UNUSED_PAD src0_sel:WORD_1 src1_sel:DWORD
	v_add_f16_e32 v32, v44, v49
	v_pk_add_f16 v53, v53, v59 neg_lo:[0,1] neg_hi:[0,1]
	v_add3_u32 v30, 0, v30, v46
	v_add_f16_e32 v31, v28, v31
	v_add_f16_sdwa v0, v45, v0 dst_sel:DWORD dst_unused:UNUSED_PAD src0_sel:WORD_1 src1_sel:DWORD
	v_add_f16_sdwa v28, v28, v29 dst_sel:DWORD dst_unused:UNUSED_PAD src0_sel:WORD_1 src1_sel:DWORD
	v_add_f16_e32 v29, v45, v32
	v_add_f16_e32 v26, v53, v26
	v_add_f16_sdwa v25, v53, v25 dst_sel:DWORD dst_unused:UNUSED_PAD src0_sel:WORD_1 src1_sel:DWORD
	ds_write_b16 v30, v27
	ds_write_b16 v30, v31 offset:20
	ds_write_b16 v30, v0 offset:40
	;; [unrolled: 1-line block ×7, first 2 shown]
	ds_write_b16_d16_hi v30, v7 offset:160
	ds_write_b16 v30, v11 offset:180
	ds_write_b16_d16_hi v30, v10 offset:200
	ds_write_b16_d16_hi v30, v11 offset:220
	ds_write_b16 v30, v10 offset:240
.LBB0_19:
	s_or_b32 exec_lo, exec_lo, s1
	v_lshl_add_u32 v0, v3, 1, 0
	s_waitcnt lgkmcnt(0)
	s_barrier
	buffer_gl0_inv
	v_cmp_gt_u32_e64 s1, 0x4e, v3
	ds_read_u16 v25, v0
	ds_read_u16 v32, v0 offset:520
	ds_read_u16 v31, v0 offset:1040
	;; [unrolled: 1-line block ×6, first 2 shown]
                                        ; implicit-def: $vgpr26
	s_and_saveexec_b32 s4, s1
	s_cbranch_execz .LBB0_21
; %bb.20:
	ds_read_u16 v7, v0 offset:364
	ds_read_u16 v10, v0 offset:2964
	;; [unrolled: 1-line block ×3, first 2 shown]
	s_waitcnt lgkmcnt(2)
	ds_read_u16_d16_hi v7, v0 offset:884
	s_waitcnt lgkmcnt(2)
	ds_read_u16_d16_hi v10, v0 offset:1924
	;; [unrolled: 2-line block ×3, first 2 shown]
	ds_read_u16 v26, v0 offset:3484
.LBB0_21:
	s_or_b32 exec_lo, exec_lo, s4
	v_sub_f16_e32 v39, v39, v43
	v_add_f16_e32 v43, v24, v13
	v_sub_f16_e32 v38, v38, v42
	v_add_f16_e32 v44, v23, v14
	v_sub_f16_e32 v35, v35, v41
	v_pk_mul_f16 v42, 0xb770ba95, v39 op_sel_hi:[1,0]
	v_sub_f16_e32 v36, v36, v40
	v_pk_mul_f16 v41, 0xba95bb7b, v38 op_sel_hi:[1,0]
	v_add_f16_e32 v45, v22, v15
	v_sub_f16_e32 v34, v34, v37
	v_pk_fma_f16 v40, 0x3b15388b, v43, v42 op_sel_hi:[1,0,1] neg_lo:[0,0,1] neg_hi:[0,0,1]
	v_pk_mul_f16 v46, 0xbbf1b3a8, v35 op_sel_hi:[1,0]
	v_pk_fma_f16 v37, 0x388bb5ac, v44, v41 op_sel_hi:[1,0,1] neg_lo:[0,0,1] neg_hi:[0,0,1]
	v_add_f16_e32 v54, v21, v19
	v_sub_f16_e32 v12, v12, v33
	v_pk_add_f16 v40, v4, v40 op_sel_hi:[0,1]
	v_pk_mul_f16 v48, 0xbb7b394e, v36 op_sel_hi:[1,0]
	v_pk_fma_f16 v33, 0x2fb7bbc4, v45, v46 op_sel_hi:[1,0,1] neg_lo:[0,0,1] neg_hi:[0,0,1]
	v_add_f16_e32 v55, v20, v18
	v_pk_mul_f16 v51, 0xb94e3bf1, v34 op_sel_hi:[1,0]
	v_pk_add_f16 v37, v37, v40
	v_pk_mul_f16 v49, 0xb94ebbf1, v39 op_sel_hi:[1,0]
	v_pk_fma_f16 v40, 0xb5acb9fd, v54, v48 op_sel_hi:[1,0,1] neg_lo:[0,0,1] neg_hi:[0,0,1]
	v_pk_mul_f16 v47, 0xbb7bb3a8, v39 op_sel_hi:[1,0]
	v_pk_mul_f16 v53, 0x3bf1b3a8, v38 op_sel_hi:[1,0]
	v_pk_add_f16 v33, v33, v37
	v_pk_fma_f16 v37, 0xb9fd2fb7, v55, v51 op_sel_hi:[1,0,1] neg_lo:[0,0,1] neg_hi:[0,0,1]
	v_pk_fma_f16 v39, 0xb9fd2fb7, v43, v49 op_sel_hi:[1,0,1] neg_lo:[0,0,1] neg_hi:[0,0,1]
	v_pk_mul_f16 v38, 0x394e3770, v38 op_sel_hi:[1,0]
	v_pk_fma_f16 v50, 0x2fb7bbc4, v44, v53 op_sel_hi:[1,0,1] neg_lo:[0,0,1] neg_hi:[0,0,1]
	v_pk_add_f16 v33, v40, v33
	v_pk_fma_f16 v40, 0xb5acbbc4, v43, v47 op_sel_hi:[1,0,1] neg_lo:[0,0,1] neg_hi:[0,0,1]
	v_pk_add_f16 v58, v4, v39 op_sel_hi:[0,1]
	v_pk_mul_f16 v57, 0xba953b7b, v35 op_sel_hi:[1,0]
	v_pk_mul_f16 v39, 0x3770b94e, v35 op_sel_hi:[1,0]
	v_pk_add_f16 v33, v37, v33
	v_pk_add_f16 v37, v4, v40 op_sel_hi:[0,1]
	v_pk_fma_f16 v40, 0xb9fd3b15, v44, v38 op_sel_hi:[1,0,1] neg_lo:[0,0,1] neg_hi:[0,0,1]
	v_pk_add_f16 v35, v50, v58
	v_pk_fma_f16 v50, 0x388bb5ac, v45, v57 op_sel_hi:[1,0,1] neg_lo:[0,0,1] neg_hi:[0,0,1]
	v_pk_mul_f16 v58, 0x33a83770, v36 op_sel_hi:[1,0]
	v_pk_fma_f16 v59, 0x3b15b9fd, v45, v39 op_sel_hi:[1,0,1] neg_lo:[0,0,1] neg_hi:[0,0,1]
	v_pk_add_f16 v37, v40, v37
	v_pk_mul_f16 v40, 0xbbf13a95, v36 op_sel_hi:[1,0]
	v_pk_add_f16 v35, v50, v35
	v_pk_fma_f16 v60, 0xbbc43b15, v54, v58 op_sel_hi:[1,0,1] neg_lo:[0,0,1] neg_hi:[0,0,1]
	v_pk_mul_f16 v50, 0x3770ba95, v34 op_sel_hi:[1,0]
	v_pk_add_f16 v37, v59, v37
	v_pk_fma_f16 v59, 0x2fb7388b, v54, v40 op_sel_hi:[1,0,1] neg_lo:[0,0,1] neg_hi:[0,0,1]
	v_pk_mul_f16 v36, 0x33a8bb7b, v34 op_sel_hi:[1,0]
	v_add_f16_e32 v56, v16, v17
	v_pk_mul_f16 v52, 0xb3a83770, v12 op_sel_hi:[1,0]
	v_pk_add_f16 v34, v60, v35
	v_pk_fma_f16 v60, 0x3b15388b, v55, v50 op_sel_hi:[1,0,1] neg_lo:[0,0,1] neg_hi:[0,0,1]
	v_pk_mul_f16 v35, 0xbb7bb94e, v12 op_sel_hi:[1,0]
	v_pk_add_f16 v59, v59, v37
	v_pk_fma_f16 v61, 0xbbc4b5ac, v55, v36 op_sel_hi:[1,0,1] neg_lo:[0,0,1] neg_hi:[0,0,1]
	v_pk_mul_f16 v37, 0x3a953bf1, v12 op_sel_hi:[1,0]
	v_pk_fma_f16 v12, 0xbbc43b15, v56, v52 op_sel_hi:[1,0,1] neg_lo:[0,0,1] neg_hi:[0,0,1]
	v_pk_add_f16 v60, v60, v34
	v_pk_fma_f16 v62, 0xb5acb9fd, v56, v35 op_sel_hi:[1,0,1] neg_lo:[0,0,1] neg_hi:[0,0,1]
	v_pk_add_f16 v59, v61, v59
	v_pk_fma_f16 v61, 0x388b2fb7, v56, v37 op_sel_hi:[1,0,1] neg_lo:[0,0,1] neg_hi:[0,0,1]
	v_pk_add_f16 v34, v12, v33
	s_waitcnt lgkmcnt(0)
	v_pk_add_f16 v33, v62, v60
	s_barrier
	v_pk_add_f16 v12, v61, v59
	buffer_gl0_inv
	s_and_saveexec_b32 s4, s0
	s_cbranch_execz .LBB0_23
; %bb.22:
	v_add_f16_e32 v24, v4, v24
	v_pk_mul_f16 v59, 0x3b15388b, v43 op_sel_hi:[1,0]
	v_pk_mul_f16 v60, 0x388bb5ac, v44 op_sel_hi:[1,0]
	;; [unrolled: 1-line block ×4, first 2 shown]
	v_add_f16_e32 v23, v24, v23
	v_pk_add_f16 v42, v42, v59
	v_pk_add_f16 v41, v41, v60
	v_pk_mul_f16 v64, 0xb9fd2fb7, v43 op_sel_hi:[1,0]
	v_pk_mul_f16 v24, 0xb9fd2fb7, v55 op_sel_hi:[1,0]
	v_add_f16_e32 v22, v23, v22
	v_pk_mul_f16 v65, 0x2fb7bbc4, v44 op_sel_hi:[1,0]
	v_pk_mul_f16 v63, 0xbbc43b15, v56 op_sel_hi:[1,0]
	v_pk_add_f16 v49, v49, v64
	v_pk_mul_f16 v23, 0x388bb5ac, v45 op_sel_hi:[1,0]
	v_add_f16_e32 v21, v22, v21
	v_pk_mul_f16 v22, 0xb5acbbc4, v43 op_sel_hi:[1,0]
	v_pk_add_f16 v24, v51, v24
	v_pk_add_f16 v51, v53, v65
	v_pk_mul_f16 v43, 0xb9fd3b15, v44 op_sel_hi:[1,0]
	v_add_f16_e32 v20, v21, v20
	v_pk_mul_f16 v66, 0xbbc43b15, v54 op_sel_hi:[1,0]
	v_pk_mul_f16 v44, 0x3b15b9fd, v45 op_sel_hi:[1,0]
	v_pk_mul_f16 v67, 0x3b15388b, v55 op_sel_hi:[1,0]
	v_pk_mul_f16 v45, 0x2fb7388b, v54 op_sel_hi:[1,0]
	v_add_f16_e32 v16, v20, v16
	v_pk_add_f16 v20, v46, v61
	v_pk_add_f16 v46, v48, v62
	;; [unrolled: 1-line block ×3, first 2 shown]
	v_pk_mul_f16 v21, 0xbbc4b5ac, v55 op_sel_hi:[1,0]
	v_add_f16_e32 v16, v16, v17
	v_add_f16_sdwa v17, v4, v42 dst_sel:DWORD dst_unused:UNUSED_PAD src0_sel:DWORD src1_sel:WORD_1
	v_add_f16_e32 v42, v4, v42
	v_pk_mul_f16 v68, 0xb5acb9fd, v56 op_sel_hi:[1,0]
	v_pk_mul_f16 v54, 0x388b2fb7, v56 op_sel_hi:[1,0]
	v_add_f16_e32 v16, v16, v18
	v_add_f16_sdwa v17, v41, v17 dst_sel:DWORD dst_unused:UNUSED_PAD src0_sel:WORD_1 src1_sel:DWORD
	v_pk_add_f16 v18, v57, v23
	v_pk_add_f16 v23, v58, v66
	v_add_f16_e32 v41, v41, v42
	v_add_f16_e32 v16, v16, v19
	v_add_f16_sdwa v17, v20, v17 dst_sel:DWORD dst_unused:UNUSED_PAD src0_sel:WORD_1 src1_sel:DWORD
	v_pk_add_f16 v19, v47, v22
	v_add_f16_e32 v22, v4, v49
	v_add_f16_e32 v20, v20, v41
	;; [unrolled: 1-line block ×3, first 2 shown]
	v_add_f16_sdwa v16, v46, v17 dst_sel:DWORD dst_unused:UNUSED_PAD src0_sel:WORD_1 src1_sel:DWORD
	v_add_f16_sdwa v17, v4, v49 dst_sel:DWORD dst_unused:UNUSED_PAD src0_sel:DWORD src1_sel:WORD_1
	v_add_f16_e32 v22, v51, v22
	v_add_f16_e32 v20, v46, v20
	;; [unrolled: 1-line block ×3, first 2 shown]
	v_add_f16_sdwa v15, v24, v16 dst_sel:DWORD dst_unused:UNUSED_PAD src0_sel:WORD_1 src1_sel:DWORD
	v_add_f16_sdwa v16, v51, v17 dst_sel:DWORD dst_unused:UNUSED_PAD src0_sel:WORD_1 src1_sel:DWORD
	v_add_f16_e32 v17, v18, v22
	v_pk_add_f16 v22, v38, v43
	v_add_f16_e32 v13, v14, v13
	v_add_f16_sdwa v14, v48, v15 dst_sel:DWORD dst_unused:UNUSED_PAD src0_sel:WORD_1 src1_sel:DWORD
	v_add_f16_sdwa v15, v4, v19 dst_sel:DWORD dst_unused:UNUSED_PAD src0_sel:DWORD src1_sel:WORD_1
	v_add_f16_sdwa v16, v18, v16 dst_sel:DWORD dst_unused:UNUSED_PAD src0_sel:WORD_1 src1_sel:DWORD
	v_add_f16_e32 v4, v4, v19
	v_pk_add_f16 v19, v39, v44
	v_add_f16_e32 v17, v23, v17
	v_add_f16_sdwa v15, v22, v15 dst_sel:DWORD dst_unused:UNUSED_PAD src0_sel:WORD_1 src1_sel:DWORD
	v_pk_add_f16 v18, v50, v67
	v_add_f16_sdwa v16, v23, v16 dst_sel:DWORD dst_unused:UNUSED_PAD src0_sel:WORD_1 src1_sel:DWORD
	v_add_f16_e32 v4, v22, v4
	v_pk_add_f16 v22, v40, v45
	v_add_f16_sdwa v15, v19, v15 dst_sel:DWORD dst_unused:UNUSED_PAD src0_sel:WORD_1 src1_sel:DWORD
	v_add_f16_e32 v17, v18, v17
	v_add_f16_sdwa v16, v18, v16 dst_sel:DWORD dst_unused:UNUSED_PAD src0_sel:WORD_1 src1_sel:DWORD
	v_add_f16_e32 v4, v19, v4
	v_mov_b32_e32 v18, 0x104
	v_mov_b32_e32 v19, 1
	v_add_f16_sdwa v15, v22, v15 dst_sel:DWORD dst_unused:UNUSED_PAD src0_sel:WORD_1 src1_sel:DWORD
	v_pk_add_f16 v21, v36, v21
	v_add_f16_e32 v4, v22, v4
	v_mul_u32_u24_sdwa v8, v8, v18 dst_sel:DWORD dst_unused:UNUSED_PAD src0_sel:WORD_0 src1_sel:DWORD
	v_lshlrev_b32_sdwa v9, v19, v9 dst_sel:DWORD dst_unused:UNUSED_PAD src0_sel:DWORD src1_sel:BYTE_0
	v_add_f16_e32 v20, v24, v20
	v_pk_add_f16 v18, v35, v68
	v_add_f16_sdwa v15, v21, v15 dst_sel:DWORD dst_unused:UNUSED_PAD src0_sel:WORD_1 src1_sel:DWORD
	v_pk_add_f16 v19, v37, v54
	v_add_f16_e32 v4, v21, v4
	v_add3_u32 v8, 0, v8, v9
	v_add_f16_e32 v20, v48, v20
	v_add_f16_e32 v9, v18, v17
	v_add_f16_sdwa v15, v19, v15 dst_sel:DWORD dst_unused:UNUSED_PAD src0_sel:WORD_1 src1_sel:DWORD
	v_add_f16_sdwa v16, v18, v16 dst_sel:DWORD dst_unused:UNUSED_PAD src0_sel:WORD_1 src1_sel:DWORD
	v_add_f16_e32 v4, v19, v4
	ds_write_b16 v8, v13
	ds_write_b16 v8, v14 offset:20
	ds_write_b16 v8, v20 offset:40
	;; [unrolled: 1-line block ×7, first 2 shown]
	ds_write_b16_d16_hi v8, v33 offset:160
	ds_write_b16_d16_hi v8, v12 offset:180
	ds_write_b16 v8, v33 offset:200
	ds_write_b16 v8, v34 offset:220
	ds_write_b16_d16_hi v8, v34 offset:240
.LBB0_23:
	s_or_b32 exec_lo, exec_lo, s4
	s_waitcnt lgkmcnt(0)
	s_barrier
	buffer_gl0_inv
	ds_read_u16 v4, v0
	ds_read_u16 v17, v0 offset:520
	ds_read_u16 v16, v0 offset:1040
	;; [unrolled: 1-line block ×6, first 2 shown]
                                        ; implicit-def: $vgpr8
	s_and_saveexec_b32 s0, s1
	s_cbranch_execz .LBB0_25
; %bb.24:
	ds_read_u16 v33, v0 offset:1924
	ds_read_u16 v12, v0 offset:364
	;; [unrolled: 1-line block ×4, first 2 shown]
	s_waitcnt lgkmcnt(3)
	ds_read_u16_d16_hi v33, v0 offset:884
	s_waitcnt lgkmcnt(3)
	ds_read_u16_d16_hi v12, v0 offset:1404
	;; [unrolled: 2-line block ×3, first 2 shown]
.LBB0_25:
	s_or_b32 exec_lo, exec_lo, s0
	v_add_nc_u32_e32 v18, 0xffffff7e, v3
	v_cmp_gt_u32_e64 s0, 0x82, v3
	v_add_nc_u32_e32 v35, 0xb6, v3
	v_mov_b32_e32 v20, 0xfc1
	v_mov_b32_e32 v19, 0
	s_waitcnt lgkmcnt(1)
	v_lshrrev_b32_e32 v53, 16, v12
	v_cndmask_b32_e64 v24, v18, v3, s0
	s_waitcnt lgkmcnt(0)
	v_lshrrev_b32_e32 v56, 16, v34
	v_mul_u32_u24_sdwa v20, v35, v20 dst_sel:DWORD dst_unused:UNUSED_PAD src0_sel:WORD_0 src1_sel:DWORD
	v_lshrrev_b32_e32 v54, 16, v10
	v_lshrrev_b32_e32 v55, 16, v11
	v_mul_i32_i24_e32 v18, 6, v24
	v_lshlrev_b32_e32 v24, 1, v24
	v_lshrrev_b32_e32 v36, 19, v20
	v_lshrrev_b32_e32 v51, 16, v7
	;; [unrolled: 1-line block ×3, first 2 shown]
	v_lshlrev_b64 v[18:19], 2, v[18:19]
	v_mul_lo_u16 v36, 0x82, v36
	v_add_co_u32 v18, s0, s12, v18
	v_add_co_ci_u32_e64 v19, s0, s13, v19, s0
	v_cmp_lt_u32_e64 s0, 0x81, v3
	s_clause 0x1
	global_load_dwordx4 v[20:23], v[18:19], off offset:480
	global_load_dwordx2 v[47:48], v[18:19], off offset:496
	v_sub_nc_u16 v18, v35, v36
	v_and_b32_e32 v18, 0xffff, v18
	v_mul_u32_u24_e32 v19, 6, v18
	v_lshl_add_u32 v18, v18, 1, 0
	v_lshlrev_b32_e32 v19, 2, v19
	s_clause 0x1
	global_load_dwordx4 v[43:46], v19, s[12:13] offset:480
	global_load_dwordx2 v[49:50], v19, s[12:13] offset:496
	v_cndmask_b32_e64 v19, 0, 0x71c, s0
	s_waitcnt vmcnt(0)
	s_barrier
	buffer_gl0_inv
	v_add3_u32 v19, 0, v19, v24
	v_mul_f16_sdwa v24, v17, v20 dst_sel:DWORD dst_unused:UNUSED_PAD src0_sel:DWORD src1_sel:WORD_1
	v_mul_f16_sdwa v36, v32, v20 dst_sel:DWORD dst_unused:UNUSED_PAD src0_sel:DWORD src1_sel:WORD_1
	v_mul_f16_sdwa v42, v16, v21 dst_sel:DWORD dst_unused:UNUSED_PAD src0_sel:DWORD src1_sel:WORD_1
	v_mul_f16_sdwa v59, v13, v47 dst_sel:DWORD dst_unused:UNUSED_PAD src0_sel:DWORD src1_sel:WORD_1
	v_mul_f16_sdwa v60, v15, v48 dst_sel:DWORD dst_unused:UNUSED_PAD src0_sel:DWORD src1_sel:WORD_1
	v_mul_f16_sdwa v41, v30, v48 dst_sel:DWORD dst_unused:UNUSED_PAD src0_sel:DWORD src1_sel:WORD_1
	v_mul_f16_sdwa v37, v31, v21 dst_sel:DWORD dst_unused:UNUSED_PAD src0_sel:DWORD src1_sel:WORD_1
	v_mul_f16_sdwa v57, v14, v22 dst_sel:DWORD dst_unused:UNUSED_PAD src0_sel:DWORD src1_sel:WORD_1
	v_mul_f16_sdwa v35, v29, v22 dst_sel:DWORD dst_unused:UNUSED_PAD src0_sel:DWORD src1_sel:WORD_1
	v_mul_f16_sdwa v58, v9, v23 dst_sel:DWORD dst_unused:UNUSED_PAD src0_sel:DWORD src1_sel:WORD_1
	v_mul_f16_sdwa v38, v28, v23 dst_sel:DWORD dst_unused:UNUSED_PAD src0_sel:DWORD src1_sel:WORD_1
	v_mul_f16_sdwa v39, v27, v47 dst_sel:DWORD dst_unused:UNUSED_PAD src0_sel:DWORD src1_sel:WORD_1
	v_fma_f16 v40, v32, v20, -v24
	v_fmac_f16_e32 v36, v17, v20
	v_fma_f16 v17, v31, v21, -v42
	v_fma_f16 v42, v30, v48, -v60
	v_fmac_f16_e32 v41, v15, v48
	v_fma_f16 v15, v27, v47, -v59
	v_fmac_f16_e32 v37, v16, v21
	;; [unrolled: 2-line block ×4, first 2 shown]
	v_fmac_f16_e32 v38, v9, v23
	v_add_f16_e32 v9, v40, v42
	v_add_f16_e32 v28, v17, v15
	v_sub_f16_e32 v13, v36, v41
	v_sub_f16_e32 v29, v37, v39
	v_add_f16_e32 v47, v16, v14
	v_sub_f16_e32 v30, v38, v35
	v_mul_f16_sdwa v32, v53, v44 dst_sel:DWORD dst_unused:UNUSED_PAD src0_sel:DWORD src1_sel:WORD_1
	v_mul_f16_sdwa v58, v56, v49 dst_sel:DWORD dst_unused:UNUSED_PAD src0_sel:DWORD src1_sel:WORD_1
	v_add_f16_e32 v60, v28, v9
	v_mul_f16_sdwa v20, v54, v45 dst_sel:DWORD dst_unused:UNUSED_PAD src0_sel:DWORD src1_sel:WORD_1
	v_mul_f16_sdwa v23, v55, v46 dst_sel:DWORD dst_unused:UNUSED_PAD src0_sel:DWORD src1_sel:WORD_1
	;; [unrolled: 1-line block ×3, first 2 shown]
	v_sub_f16_e32 v61, v28, v9
	v_sub_f16_e32 v9, v9, v47
	;; [unrolled: 1-line block ×5, first 2 shown]
	v_fma_f16 v28, v11, v44, -v32
	v_fma_f16 v32, v10, v49, -v58
	v_add_f16_e32 v10, v47, v60
	v_add_f16_e32 v63, v30, v29
	v_mul_f16_sdwa v31, v52, v43 dst_sel:DWORD dst_unused:UNUSED_PAD src0_sel:DWORD src1_sel:WORD_1
	v_mul_f16_sdwa v21, v51, v43 dst_sel:DWORD dst_unused:UNUSED_PAD src0_sel:DWORD src1_sel:WORD_1
	;; [unrolled: 1-line block ×5, first 2 shown]
	v_sub_f16_e32 v65, v13, v30
	v_fmac_f16_e32 v20, v33, v45
	v_fmac_f16_e32 v23, v34, v46
	v_mul_f16_e32 v9, 0x3a52, v9
	v_mul_f16_e32 v33, 0xb846, v64
	;; [unrolled: 1-line block ×3, first 2 shown]
	v_add_f16_e32 v25, v25, v10
	v_add_f16_e32 v11, v63, v13
	v_mul_f16_e32 v13, 0x2b26, v62
	v_fma_f16 v29, v51, v43, -v31
	v_fmac_f16_e32 v21, v52, v43
	v_fmac_f16_e32 v22, v53, v44
	v_fmamk_f16 v43, v62, 0x2b26, v9
	v_fmamk_f16 v44, v65, 0x3574, v33
	v_fma_f16 v33, v66, 0x3b00, -v33
	v_fma_f16 v34, v65, 0xb574, -v34
	v_fmamk_f16 v10, v10, 0xbcab, v25
	v_fma_f16 v9, v61, 0xb9e0, -v9
	v_fma_f16 v13, v61, 0x39e0, -v13
	v_mul_f16_sdwa v59, v8, v50 dst_sel:DWORD dst_unused:UNUSED_PAD src0_sel:DWORD src1_sel:WORD_1
	v_mul_f16_sdwa v27, v26, v50 dst_sel:DWORD dst_unused:UNUSED_PAD src0_sel:DWORD src1_sel:WORD_1
	v_fmac_f16_e32 v44, 0x370e, v11
	v_fmac_f16_e32 v33, 0x370e, v11
	;; [unrolled: 1-line block ×3, first 2 shown]
	v_add_f16_e32 v11, v43, v10
	v_add_f16_e32 v9, v9, v10
	;; [unrolled: 1-line block ×3, first 2 shown]
	v_fma_f16 v30, v54, v45, -v48
	v_fma_f16 v31, v55, v46, -v57
	v_fmac_f16_e32 v24, v56, v49
	v_fma_f16 v26, v26, v50, -v59
	v_fmac_f16_e32 v27, v8, v50
	v_add_f16_e32 v8, v44, v11
	v_add_f16_e32 v13, v34, v9
	ds_write_b16 v19, v25
	v_sub_f16_e32 v25, v10, v33
	v_add_f16_e32 v10, v33, v10
	v_sub_f16_e32 v9, v9, v34
	v_sub_f16_e32 v11, v11, v44
	ds_write_b16 v19, v8 offset:260
	ds_write_b16 v19, v13 offset:520
	;; [unrolled: 1-line block ×6, first 2 shown]
	s_and_saveexec_b32 s0, s1
	s_cbranch_execz .LBB0_27
; %bb.26:
	v_add_f16_e32 v8, v29, v26
	v_add_f16_e32 v9, v28, v32
	;; [unrolled: 1-line block ×3, first 2 shown]
	v_sub_f16_e32 v13, v23, v20
	v_sub_f16_e32 v33, v22, v24
	;; [unrolled: 1-line block ×3, first 2 shown]
	v_add_f16_e32 v25, v9, v8
	v_sub_f16_e32 v34, v8, v10
	v_sub_f16_e32 v43, v10, v9
	;; [unrolled: 1-line block ×4, first 2 shown]
	v_add_f16_e32 v10, v10, v25
	v_sub_f16_e32 v25, v13, v33
	v_add_f16_e32 v13, v13, v33
	v_sub_f16_e32 v33, v33, v11
	v_mul_f16_e32 v9, 0x3a52, v34
	v_add_f16_e32 v7, v7, v10
	v_mul_f16_e32 v25, 0xb846, v25
	v_add_f16_e32 v11, v13, v11
	v_mul_f16_e32 v34, 0x3b00, v33
	v_fmamk_f16 v13, v43, 0x2b26, v9
	v_mul_f16_e32 v43, 0x2b26, v43
	v_fmamk_f16 v10, v10, 0xbcab, v7
	v_fmamk_f16 v45, v44, 0x3574, v25
	v_fma_f16 v9, v8, 0xb9e0, -v9
	v_fma_f16 v34, v44, 0xb574, -v34
	;; [unrolled: 1-line block ×4, first 2 shown]
	v_add_f16_e32 v13, v13, v10
	v_fmac_f16_e32 v45, 0x370e, v11
	v_add_f16_e32 v9, v9, v10
	v_fmac_f16_e32 v34, 0x370e, v11
	v_fmac_f16_e32 v25, 0x370e, v11
	v_add_f16_e32 v8, v8, v10
	v_sub_f16_e32 v10, v13, v45
	v_add_f16_e32 v13, v45, v13
	v_sub_f16_e32 v11, v9, v34
	;; [unrolled: 2-line block ×3, first 2 shown]
	v_add_f16_e32 v8, v25, v8
	ds_write_b16 v18, v7 offset:1820
	ds_write_b16 v18, v13 offset:2080
	ds_write_b16 v18, v9 offset:2340
	ds_write_b16 v18, v33 offset:2600
	ds_write_b16 v18, v8 offset:2860
	ds_write_b16 v18, v11 offset:3120
	ds_write_b16 v18, v10 offset:3380
.LBB0_27:
	s_or_b32 exec_lo, exec_lo, s0
	v_add_f16_e32 v7, v36, v41
	v_add_f16_e32 v8, v37, v39
	;; [unrolled: 1-line block ×3, first 2 shown]
	v_sub_f16_e32 v11, v17, v15
	v_sub_f16_e32 v13, v14, v16
	;; [unrolled: 1-line block ×3, first 2 shown]
	v_add_f16_e32 v14, v8, v7
	v_sub_f16_e32 v15, v8, v7
	v_sub_f16_e32 v7, v7, v10
	;; [unrolled: 1-line block ×3, first 2 shown]
	v_add_f16_e32 v16, v13, v11
	v_add_f16_e32 v10, v10, v14
	v_sub_f16_e32 v14, v13, v11
	v_sub_f16_e32 v13, v9, v13
	v_sub_f16_e32 v11, v11, v9
	v_add_f16_e32 v25, v16, v9
	v_add_f16_e32 v4, v4, v10
	v_mul_f16_e32 v7, 0x3a52, v7
	v_mul_f16_e32 v9, 0x2b26, v8
	;; [unrolled: 1-line block ×4, first 2 shown]
	v_fmamk_f16 v10, v10, 0xbcab, v4
	v_fmamk_f16 v8, v8, 0x2b26, v7
	v_fma_f16 v9, v15, 0x39e0, -v9
	v_fma_f16 v7, v15, 0xb9e0, -v7
	v_fmamk_f16 v33, v13, 0x3574, v14
	v_fma_f16 v34, v11, 0x3b00, -v14
	v_fma_f16 v35, v13, 0xb574, -v16
	v_add_f16_e32 v36, v8, v10
	v_add_f16_e32 v37, v9, v10
	;; [unrolled: 1-line block ×3, first 2 shown]
	s_waitcnt lgkmcnt(0)
	s_barrier
	buffer_gl0_inv
	ds_read_u16 v11, v0 offset:2184
	ds_read_u16 v13, v0 offset:2548
	ds_read_u16 v7, v0
	ds_read_u16 v8, v0 offset:364
	ds_read_u16 v9, v0 offset:728
	;; [unrolled: 1-line block ×7, first 2 shown]
	v_fmac_f16_e32 v33, 0x370e, v25
	v_fmac_f16_e32 v35, 0x370e, v25
	;; [unrolled: 1-line block ×3, first 2 shown]
	s_waitcnt lgkmcnt(0)
	s_barrier
	v_sub_f16_e32 v25, v36, v33
	v_sub_f16_e32 v39, v38, v35
	v_add_f16_e32 v40, v34, v37
	v_sub_f16_e32 v34, v37, v34
	v_add_f16_e32 v35, v35, v38
	v_add_f16_e32 v33, v33, v36
	buffer_gl0_inv
	ds_write_b16 v19, v4
	ds_write_b16 v19, v25 offset:260
	ds_write_b16 v19, v39 offset:520
	;; [unrolled: 1-line block ×6, first 2 shown]
	s_and_saveexec_b32 s0, s1
	s_cbranch_execz .LBB0_29
; %bb.28:
	v_add_f16_e32 v4, v21, v27
	v_add_f16_e32 v19, v22, v24
	;; [unrolled: 1-line block ×3, first 2 shown]
	v_sub_f16_e32 v22, v28, v32
	v_sub_f16_e32 v23, v31, v30
	;; [unrolled: 1-line block ×3, first 2 shown]
	v_add_f16_e32 v24, v19, v4
	v_sub_f16_e32 v25, v19, v4
	v_sub_f16_e32 v4, v4, v20
	;; [unrolled: 1-line block ×3, first 2 shown]
	v_add_f16_e32 v26, v23, v22
	v_add_f16_e32 v20, v20, v24
	v_sub_f16_e32 v24, v23, v22
	v_sub_f16_e32 v22, v22, v21
	;; [unrolled: 1-line block ×3, first 2 shown]
	v_add_f16_e32 v21, v26, v21
	v_add_f16_e32 v12, v12, v20
	v_mul_f16_e32 v4, 0x3a52, v4
	v_mul_f16_e32 v26, 0x2b26, v19
	;; [unrolled: 1-line block ×4, first 2 shown]
	v_fmamk_f16 v20, v20, 0xbcab, v12
	v_fmamk_f16 v19, v19, 0x2b26, v4
	v_fma_f16 v26, v25, 0x39e0, -v26
	v_fma_f16 v4, v25, 0xb9e0, -v4
	v_fmamk_f16 v25, v23, 0x3574, v24
	v_fma_f16 v23, v23, 0xb574, -v27
	v_fma_f16 v22, v22, 0x3b00, -v24
	v_add_f16_e32 v19, v19, v20
	v_add_f16_e32 v4, v4, v20
	v_fmac_f16_e32 v25, 0x370e, v21
	v_fmac_f16_e32 v23, 0x370e, v21
	v_add_f16_e32 v24, v26, v20
	v_fmac_f16_e32 v22, 0x370e, v21
	v_sub_f16_e32 v20, v19, v25
	v_sub_f16_e32 v21, v4, v23
	v_add_f16_e32 v4, v23, v4
	v_add_f16_e32 v26, v22, v24
	v_sub_f16_e32 v22, v24, v22
	v_add_f16_e32 v19, v25, v19
	ds_write_b16 v18, v12 offset:1820
	ds_write_b16 v18, v20 offset:2080
	;; [unrolled: 1-line block ×7, first 2 shown]
.LBB0_29:
	s_or_b32 exec_lo, exec_lo, s0
	s_waitcnt lgkmcnt(0)
	s_barrier
	buffer_gl0_inv
	s_and_saveexec_b32 s0, vcc_lo
	s_cbranch_execz .LBB0_31
; %bb.30:
	v_mov_b32_e32 v19, 0
	v_add_nc_u32_e32 v18, 0x2d8, v3
	v_add_nc_u32_e32 v20, 0x222, v3
	v_mul_lo_u32 v6, s2, v6
	v_mov_b32_e32 v21, v19
	v_lshlrev_b64 v[22:23], 2, v[18:19]
	v_mov_b32_e32 v4, v19
	v_lshlrev_b64 v[20:21], 2, v[20:21]
	v_add_co_u32 v12, vcc_lo, s12, v22
	v_add_co_ci_u32_e32 v18, vcc_lo, s13, v23, vcc_lo
	v_lshlrev_b64 v[22:23], 2, v[3:4]
	v_add_co_u32 v24, vcc_lo, 0x800, v12
	v_add_co_ci_u32_e32 v25, vcc_lo, 0, v18, vcc_lo
	v_add_co_u32 v4, vcc_lo, s12, v20
	v_add_co_ci_u32_e32 v12, vcc_lo, s13, v21, vcc_lo
	v_add_co_u32 v18, vcc_lo, s12, v22
	global_load_dword v32, v[24:25], off offset:1552
	v_add_co_ci_u32_e32 v25, vcc_lo, s13, v23, vcc_lo
	v_add_co_u32 v20, vcc_lo, 0x800, v4
	v_add_co_ci_u32_e32 v21, vcc_lo, 0, v12, vcc_lo
	v_add_co_u32 v22, vcc_lo, 0x1000, v18
	;; [unrolled: 2-line block ×3, first 2 shown]
	v_add_co_ci_u32_e32 v25, vcc_lo, 0, v25, vcc_lo
	s_clause 0x3
	global_load_dword v12, v[20:21], off offset:1552
	global_load_dword v33, v[22:23], off offset:960
	;; [unrolled: 1-line block ×4, first 2 shown]
	v_lshrrev_b32_e32 v20, 1, v3
	v_add_nc_u32_e32 v21, 0xb6, v3
	v_mul_lo_u32 v18, s3, v5
	v_mad_u64_u32 v[4:5], null, s2, v5, 0
	v_add_nc_u32_e32 v22, 0x16c, v3
	v_mul_hi_u32 v20, 0x90090091, v20
	v_lshrrev_b32_e32 v25, 1, v21
	v_add_nc_u32_e32 v23, 0x222, v3
	ds_read_u16 v36, v0 offset:3276
	ds_read_u16 v37, v0 offset:2912
	;; [unrolled: 1-line block ×5, first 2 shown]
	v_lshrrev_b32_e32 v26, 1, v22
	v_add3_u32 v5, v5, v6, v18
	v_mul_hi_u32 v6, 0x90090091, v25
	v_lshrrev_b32_e32 v27, 1, v23
	v_lshrrev_b32_e32 v20, 8, v20
	v_mul_hi_u32 v18, 0x90090091, v26
	v_lshlrev_b64 v[4:5], 2, v[4:5]
	ds_read_u16 v41, v0 offset:1456
	ds_read_u16 v42, v0 offset:1092
	;; [unrolled: 1-line block ×4, first 2 shown]
	ds_read_u16 v45, v0
	v_lshlrev_b64 v[0:1], 2, v[1:2]
	v_mul_u32_u24_e32 v2, 0x38e, v20
	v_lshrrev_b32_e32 v6, 8, v6
	v_add_nc_u32_e32 v24, 0x2d8, v3
	v_mul_hi_u32 v25, 0x90090091, v27
	v_lshrrev_b32_e32 v27, 8, v18
	v_add_co_u32 v4, vcc_lo, s10, v4
	v_sub_nc_u32_e32 v2, v3, v2
	v_mul_u32_u24_e32 v3, 0x38e, v6
	v_add_co_ci_u32_e32 v5, vcc_lo, s11, v5, vcc_lo
	v_lshrrev_b32_e32 v28, 1, v24
	v_mul_u32_u24_e32 v18, 0x38e, v27
	v_add_co_u32 v46, vcc_lo, v4, v0
	v_sub_nc_u32_e32 v0, v21, v3
	v_mul_hi_u32 v26, 0x90090091, v28
	v_lshrrev_b32_e32 v28, 8, v25
	v_sub_nc_u32_e32 v22, v22, v18
	v_add_co_ci_u32_e32 v47, vcc_lo, v5, v1, vcc_lo
	v_mad_u32_u24 v18, 0x71c, v6, v0
	v_mul_u32_u24_e32 v20, 0x38e, v28
	v_lshlrev_b32_e32 v1, 2, v2
	v_lshrrev_b32_e32 v30, 8, v26
	v_lshlrev_b64 v[2:3], 2, v[18:19]
	v_add_nc_u32_e32 v18, 0x38e, v18
	v_sub_nc_u32_e32 v26, v23, v20
	v_mul_u32_u24_e32 v25, 0x38e, v30
	v_add_co_u32 v0, vcc_lo, v46, v1
	v_lshlrev_b64 v[20:21], 2, v[18:19]
	v_mad_u32_u24 v18, 0x71c, v27, v22
	v_add_co_ci_u32_e32 v1, vcc_lo, 0, v47, vcc_lo
	v_sub_nc_u32_e32 v31, v24, v25
	v_add_co_u32 v4, vcc_lo, 0x800, v0
	v_lshlrev_b64 v[22:23], 2, v[18:19]
	v_add_nc_u32_e32 v18, 0x38e, v18
	v_add_co_ci_u32_e32 v5, vcc_lo, 0, v1, vcc_lo
	v_add_co_u32 v2, vcc_lo, v46, v2
	v_lshlrev_b64 v[24:25], 2, v[18:19]
	v_mad_u32_u24 v18, 0x71c, v28, v26
	v_add_co_ci_u32_e32 v3, vcc_lo, v47, v3, vcc_lo
	v_add_co_u32 v20, vcc_lo, v46, v20
	v_lshlrev_b64 v[26:27], 2, v[18:19]
	v_add_nc_u32_e32 v18, 0x38e, v18
	v_add_co_ci_u32_e32 v21, vcc_lo, v47, v21, vcc_lo
	v_add_co_u32 v22, vcc_lo, v46, v22
	v_lshlrev_b64 v[28:29], 2, v[18:19]
	v_mad_u32_u24 v18, 0x71c, v30, v31
	v_add_co_ci_u32_e32 v23, vcc_lo, v47, v23, vcc_lo
	v_add_co_u32 v24, vcc_lo, v46, v24
	v_lshlrev_b64 v[30:31], 2, v[18:19]
	v_add_nc_u32_e32 v18, 0x38e, v18
	v_add_co_ci_u32_e32 v25, vcc_lo, v47, v25, vcc_lo
	v_add_co_u32 v26, vcc_lo, v46, v26
	v_add_co_ci_u32_e32 v27, vcc_lo, v47, v27, vcc_lo
	v_add_co_u32 v28, vcc_lo, v46, v28
	v_lshlrev_b64 v[18:19], 2, v[18:19]
	v_add_co_ci_u32_e32 v29, vcc_lo, v47, v29, vcc_lo
	v_add_co_u32 v30, vcc_lo, v46, v30
	v_add_co_ci_u32_e32 v31, vcc_lo, v47, v31, vcc_lo
	v_add_co_u32 v18, vcc_lo, v46, v18
	v_add_co_ci_u32_e32 v19, vcc_lo, v47, v19, vcc_lo
	s_waitcnt vmcnt(4) lgkmcnt(9)
	v_mul_f16_sdwa v6, v36, v32 dst_sel:DWORD dst_unused:UNUSED_PAD src0_sel:DWORD src1_sel:WORD_1
	v_mul_f16_sdwa v48, v17, v32 dst_sel:DWORD dst_unused:UNUSED_PAD src0_sel:DWORD src1_sel:WORD_1
	v_fma_f16 v6, v17, v32, -v6
	v_fmac_f16_e32 v48, v32, v36
	v_sub_f16_e32 v6, v15, v6
	s_waitcnt lgkmcnt(4)
	v_sub_f16_e32 v48, v41, v48
	s_waitcnt vmcnt(3)
	v_mul_f16_sdwa v17, v37, v12 dst_sel:DWORD dst_unused:UNUSED_PAD src0_sel:DWORD src1_sel:WORD_1
	v_mul_f16_sdwa v32, v16, v12 dst_sel:DWORD dst_unused:UNUSED_PAD src0_sel:DWORD src1_sel:WORD_1
	s_waitcnt vmcnt(2)
	v_mul_f16_sdwa v36, v38, v33 dst_sel:DWORD dst_unused:UNUSED_PAD src0_sel:DWORD src1_sel:WORD_1
	s_waitcnt vmcnt(1)
	v_mul_f16_sdwa v50, v40, v34 dst_sel:DWORD dst_unused:UNUSED_PAD src0_sel:DWORD src1_sel:WORD_1
	v_mul_f16_sdwa v51, v14, v34 dst_sel:DWORD dst_unused:UNUSED_PAD src0_sel:DWORD src1_sel:WORD_1
	s_waitcnt vmcnt(0)
	v_mul_f16_sdwa v47, v39, v35 dst_sel:DWORD dst_unused:UNUSED_PAD src0_sel:DWORD src1_sel:WORD_1
	v_mul_f16_sdwa v49, v11, v35 dst_sel:DWORD dst_unused:UNUSED_PAD src0_sel:DWORD src1_sel:WORD_1
	;; [unrolled: 1-line block ×3, first 2 shown]
	v_fma_f16 v16, v16, v12, -v17
	v_fmac_f16_e32 v32, v12, v37
	v_fma_f16 v12, v13, v33, -v36
	v_fma_f16 v13, v14, v34, -v50
	v_fmac_f16_e32 v51, v34, v40
	v_fma_f16 v11, v11, v35, -v47
	v_fmac_f16_e32 v49, v35, v39
	v_fmac_f16_e32 v46, v33, v38
	v_sub_f16_e32 v13, v7, v13
	s_waitcnt lgkmcnt(0)
	v_sub_f16_e32 v34, v45, v51
	v_sub_f16_e32 v11, v8, v11
	;; [unrolled: 1-line block ×7, first 2 shown]
	v_fma_f16 v7, v7, 2.0, -v13
	v_fma_f16 v38, v45, 2.0, -v34
	;; [unrolled: 1-line block ×6, first 2 shown]
	v_pack_b32_f16 v13, v13, v34
	v_fma_f16 v14, v15, 2.0, -v6
	v_fma_f16 v15, v41, 2.0, -v48
	;; [unrolled: 1-line block ×4, first 2 shown]
	v_pack_b32_f16 v7, v7, v38
	v_pack_b32_f16 v8, v8, v37
	;; [unrolled: 1-line block ×3, first 2 shown]
	global_store_dword v[4:5], v13, off offset:1592
	v_pack_b32_f16 v4, v9, v36
	v_pack_b32_f16 v12, v12, v32
	;; [unrolled: 1-line block ×6, first 2 shown]
	global_store_dword v[0:1], v7, off
	global_store_dword v[2:3], v8, off
	;; [unrolled: 1-line block ×9, first 2 shown]
.LBB0_31:
	s_endpgm
	.section	.rodata,"a",@progbits
	.p2align	6, 0x0
	.amdhsa_kernel fft_rtc_fwd_len1820_factors_10_13_7_2_wgs_182_tpt_182_halfLds_half_op_CI_CI_unitstride_sbrr_dirReg
		.amdhsa_group_segment_fixed_size 0
		.amdhsa_private_segment_fixed_size 0
		.amdhsa_kernarg_size 104
		.amdhsa_user_sgpr_count 6
		.amdhsa_user_sgpr_private_segment_buffer 1
		.amdhsa_user_sgpr_dispatch_ptr 0
		.amdhsa_user_sgpr_queue_ptr 0
		.amdhsa_user_sgpr_kernarg_segment_ptr 1
		.amdhsa_user_sgpr_dispatch_id 0
		.amdhsa_user_sgpr_flat_scratch_init 0
		.amdhsa_user_sgpr_private_segment_size 0
		.amdhsa_wavefront_size32 1
		.amdhsa_uses_dynamic_stack 0
		.amdhsa_system_sgpr_private_segment_wavefront_offset 0
		.amdhsa_system_sgpr_workgroup_id_x 1
		.amdhsa_system_sgpr_workgroup_id_y 0
		.amdhsa_system_sgpr_workgroup_id_z 0
		.amdhsa_system_sgpr_workgroup_info 0
		.amdhsa_system_vgpr_workitem_id 0
		.amdhsa_next_free_vgpr 73
		.amdhsa_next_free_sgpr 27
		.amdhsa_reserve_vcc 1
		.amdhsa_reserve_flat_scratch 0
		.amdhsa_float_round_mode_32 0
		.amdhsa_float_round_mode_16_64 0
		.amdhsa_float_denorm_mode_32 3
		.amdhsa_float_denorm_mode_16_64 3
		.amdhsa_dx10_clamp 1
		.amdhsa_ieee_mode 1
		.amdhsa_fp16_overflow 0
		.amdhsa_workgroup_processor_mode 1
		.amdhsa_memory_ordered 1
		.amdhsa_forward_progress 0
		.amdhsa_shared_vgpr_count 0
		.amdhsa_exception_fp_ieee_invalid_op 0
		.amdhsa_exception_fp_denorm_src 0
		.amdhsa_exception_fp_ieee_div_zero 0
		.amdhsa_exception_fp_ieee_overflow 0
		.amdhsa_exception_fp_ieee_underflow 0
		.amdhsa_exception_fp_ieee_inexact 0
		.amdhsa_exception_int_div_zero 0
	.end_amdhsa_kernel
	.text
.Lfunc_end0:
	.size	fft_rtc_fwd_len1820_factors_10_13_7_2_wgs_182_tpt_182_halfLds_half_op_CI_CI_unitstride_sbrr_dirReg, .Lfunc_end0-fft_rtc_fwd_len1820_factors_10_13_7_2_wgs_182_tpt_182_halfLds_half_op_CI_CI_unitstride_sbrr_dirReg
                                        ; -- End function
	.section	.AMDGPU.csdata,"",@progbits
; Kernel info:
; codeLenInByte = 9756
; NumSgprs: 29
; NumVgprs: 73
; ScratchSize: 0
; MemoryBound: 0
; FloatMode: 240
; IeeeMode: 1
; LDSByteSize: 0 bytes/workgroup (compile time only)
; SGPRBlocks: 3
; VGPRBlocks: 9
; NumSGPRsForWavesPerEU: 29
; NumVGPRsForWavesPerEU: 73
; Occupancy: 12
; WaveLimiterHint : 1
; COMPUTE_PGM_RSRC2:SCRATCH_EN: 0
; COMPUTE_PGM_RSRC2:USER_SGPR: 6
; COMPUTE_PGM_RSRC2:TRAP_HANDLER: 0
; COMPUTE_PGM_RSRC2:TGID_X_EN: 1
; COMPUTE_PGM_RSRC2:TGID_Y_EN: 0
; COMPUTE_PGM_RSRC2:TGID_Z_EN: 0
; COMPUTE_PGM_RSRC2:TIDIG_COMP_CNT: 0
	.text
	.p2alignl 6, 3214868480
	.fill 48, 4, 3214868480
	.type	__hip_cuid_e24df537ff477bab,@object ; @__hip_cuid_e24df537ff477bab
	.section	.bss,"aw",@nobits
	.globl	__hip_cuid_e24df537ff477bab
__hip_cuid_e24df537ff477bab:
	.byte	0                               ; 0x0
	.size	__hip_cuid_e24df537ff477bab, 1

	.ident	"AMD clang version 19.0.0git (https://github.com/RadeonOpenCompute/llvm-project roc-6.4.0 25133 c7fe45cf4b819c5991fe208aaa96edf142730f1d)"
	.section	".note.GNU-stack","",@progbits
	.addrsig
	.addrsig_sym __hip_cuid_e24df537ff477bab
	.amdgpu_metadata
---
amdhsa.kernels:
  - .args:
      - .actual_access:  read_only
        .address_space:  global
        .offset:         0
        .size:           8
        .value_kind:     global_buffer
      - .offset:         8
        .size:           8
        .value_kind:     by_value
      - .actual_access:  read_only
        .address_space:  global
        .offset:         16
        .size:           8
        .value_kind:     global_buffer
      - .actual_access:  read_only
        .address_space:  global
        .offset:         24
        .size:           8
        .value_kind:     global_buffer
      - .actual_access:  read_only
        .address_space:  global
        .offset:         32
        .size:           8
        .value_kind:     global_buffer
      - .offset:         40
        .size:           8
        .value_kind:     by_value
      - .actual_access:  read_only
        .address_space:  global
        .offset:         48
        .size:           8
        .value_kind:     global_buffer
      - .actual_access:  read_only
        .address_space:  global
        .offset:         56
        .size:           8
        .value_kind:     global_buffer
      - .offset:         64
        .size:           4
        .value_kind:     by_value
      - .actual_access:  read_only
        .address_space:  global
        .offset:         72
        .size:           8
        .value_kind:     global_buffer
      - .actual_access:  read_only
        .address_space:  global
        .offset:         80
        .size:           8
        .value_kind:     global_buffer
      - .actual_access:  read_only
        .address_space:  global
        .offset:         88
        .size:           8
        .value_kind:     global_buffer
      - .actual_access:  write_only
        .address_space:  global
        .offset:         96
        .size:           8
        .value_kind:     global_buffer
    .group_segment_fixed_size: 0
    .kernarg_segment_align: 8
    .kernarg_segment_size: 104
    .language:       OpenCL C
    .language_version:
      - 2
      - 0
    .max_flat_workgroup_size: 182
    .name:           fft_rtc_fwd_len1820_factors_10_13_7_2_wgs_182_tpt_182_halfLds_half_op_CI_CI_unitstride_sbrr_dirReg
    .private_segment_fixed_size: 0
    .sgpr_count:     29
    .sgpr_spill_count: 0
    .symbol:         fft_rtc_fwd_len1820_factors_10_13_7_2_wgs_182_tpt_182_halfLds_half_op_CI_CI_unitstride_sbrr_dirReg.kd
    .uniform_work_group_size: 1
    .uses_dynamic_stack: false
    .vgpr_count:     73
    .vgpr_spill_count: 0
    .wavefront_size: 32
    .workgroup_processor_mode: 1
amdhsa.target:   amdgcn-amd-amdhsa--gfx1030
amdhsa.version:
  - 1
  - 2
...

	.end_amdgpu_metadata
